;; amdgpu-corpus repo=LLNL/RAJAPerf kind=compiled arch=gfx906 opt=O3
	.amdgcn_target "amdgcn-amd-amdhsa--gfx906"
	.amdhsa_code_object_version 6
	.section	.text._ZN8rajaperf4apps13Diffusion3DPAILm64EEEvPdS2_S2_S2_S2_b,"axG",@progbits,_ZN8rajaperf4apps13Diffusion3DPAILm64EEEvPdS2_S2_S2_S2_b,comdat
	.protected	_ZN8rajaperf4apps13Diffusion3DPAILm64EEEvPdS2_S2_S2_S2_b ; -- Begin function _ZN8rajaperf4apps13Diffusion3DPAILm64EEEvPdS2_S2_S2_S2_b
	.globl	_ZN8rajaperf4apps13Diffusion3DPAILm64EEEvPdS2_S2_S2_S2_b
	.p2align	8
	.type	_ZN8rajaperf4apps13Diffusion3DPAILm64EEEvPdS2_S2_S2_S2_b,@function
_ZN8rajaperf4apps13Diffusion3DPAILm64EEEvPdS2_S2_S2_S2_b: ; @_ZN8rajaperf4apps13Diffusion3DPAILm64EEEvPdS2_S2_S2_S2_b
; %bb.0:
	s_load_dwordx8 s[12:19], s[4:5], 0x8
	v_cmp_gt_u32_e64 s[0:1], 3, v2
	s_and_saveexec_b64 s[2:3], s[0:1]
	s_cbranch_execz .LBB0_4
; %bb.1:
	v_cmp_gt_u32_e32 vcc, 3, v1
	s_and_b64 exec, exec, vcc
	s_cbranch_execz .LBB0_4
; %bb.2:
	v_cmp_gt_u32_e32 vcc, 3, v0
	s_and_b64 exec, exec, vcc
	s_cbranch_execz .LBB0_4
; %bb.3:
	v_mul_u32_u24_e32 v5, 24, v1
	s_waitcnt lgkmcnt(0)
	v_mov_b32_e32 v3, s17
	v_add_co_u32_e32 v4, vcc, s16, v5
	v_addc_co_u32_e32 v6, vcc, 0, v3, vcc
	v_lshlrev_b32_e32 v7, 3, v0
	v_add_co_u32_e32 v3, vcc, v4, v7
	v_addc_co_u32_e32 v4, vcc, 0, v6, vcc
	s_movk_i32 s7, 0x48
	v_mad_u64_u32 v[3:4], s[8:9], v2, s7, v[3:4]
	v_mov_b32_e32 v6, 0xd8
	v_mad_u64_u32 v[3:4], s[8:9], s6, v6, v[3:4]
	v_mul_u32_u24_e32 v6, 0x48, v2
	v_add3_u32 v5, v6, v5, v7
	global_load_dwordx2 v[3:4], v[3:4], off
	s_waitcnt vmcnt(0)
	ds_write_b64 v5, v[3:4] offset:1024
.LBB0_4:
	s_or_b64 exec, exec, s[2:3]
	v_cmp_eq_u32_e64 s[2:3], 0, v2
	s_and_saveexec_b64 s[8:9], s[2:3]
	s_cbranch_execz .LBB0_8
; %bb.5:
	v_cmp_gt_u32_e32 vcc, 3, v1
	s_and_b64 exec, exec, vcc
	s_cbranch_execz .LBB0_8
; %bb.6:
	v_cmp_gt_u32_e32 vcc, 4, v0
	s_and_b64 exec, exec, vcc
	s_cbranch_execz .LBB0_8
; %bb.7:
	v_lshlrev_b32_e32 v3, 3, v0
	v_lshl_or_b32 v3, v1, 5, v3
	s_waitcnt lgkmcnt(0)
	global_load_dwordx2 v[3:4], v3, s[12:13]
	v_lshlrev_b32_e32 v5, 3, v1
	v_mad_u32_u24 v5, v0, 24, v5
	s_waitcnt vmcnt(0)
	ds_write_b64 v5, v[3:4] offset:3072
.LBB0_8:
	s_or_b64 exec, exec, s[8:9]
	s_waitcnt lgkmcnt(0)
	; wave barrier
	s_and_saveexec_b64 s[8:9], s[0:1]
	s_cbranch_execz .LBB0_12
; %bb.9:
	v_cmp_gt_u32_e32 vcc, 3, v1
	s_and_b64 exec, exec, vcc
	s_cbranch_execz .LBB0_12
; %bb.10:
	v_cmp_gt_u32_e32 vcc, 4, v0
	s_and_b64 exec, exec, vcc
	s_cbranch_execz .LBB0_12
; %bb.11:
	v_mul_u32_u24_e32 v3, 24, v1
	s_movk_i32 s7, 0x48
	v_mad_u32_u24 v11, v2, s7, v3
	v_mov_b32_e32 v3, 0xc00
	v_mad_u32_u24 v7, v0, 24, v3
	ds_read2_b64 v[3:6], v11 offset0:128 offset1:129
	ds_read2_b64 v[7:10], v7 offset1:1
	v_mul_u32_u24_e32 v13, 24, v0
	ds_read_b64 v[11:12], v11 offset:1040
	ds_read_b64 v[13:14], v13 offset:3088
	s_waitcnt lgkmcnt(2)
	v_fma_f64 v[3:4], v[3:4], v[7:8], 0
	v_lshlrev_b32_e32 v7, 3, v0
	v_fma_f64 v[3:4], v[5:6], v[9:10], v[3:4]
	v_mul_u32_u24_e32 v5, 24, v2
	v_mad_u32_u24 v5, v2, s7, v5
	v_lshlrev_b32_e32 v6, 5, v1
	v_add3_u32 v5, v5, v6, v7
	s_waitcnt lgkmcnt(0)
	v_fma_f64 v[3:4], v[11:12], v[13:14], v[3:4]
	ds_write2st64_b64 v5, v[3:4], v[3:4] offset1:1
.LBB0_12:
	s_or_b64 exec, exec, s[8:9]
	s_waitcnt lgkmcnt(0)
	; wave barrier
	s_and_saveexec_b64 s[8:9], s[0:1]
	s_cbranch_execz .LBB0_16
; %bb.13:
	v_cmp_gt_u32_e32 vcc, 4, v1
	s_and_b64 exec, exec, vcc
	s_cbranch_execz .LBB0_16
; %bb.14:
	v_cmp_gt_u32_e32 vcc, 4, v0
	s_and_b64 exec, exec, vcc
	s_cbranch_execz .LBB0_16
; %bb.15:
	v_lshlrev_b32_e32 v19, 3, v0
	s_movk_i32 s7, 0x60
	v_mov_b32_e32 v3, 0xc00
	v_mad_u32_u24 v20, v2, s7, v19
	v_mad_u32_u24 v7, v1, 24, v3
	ds_read2_b64 v[3:6], v20 offset0:8 offset1:64
	ds_read2_b64 v[7:10], v7 offset1:1
	ds_read2_b64 v[11:14], v20 offset1:4
	v_mul_u32_u24_e32 v15, 24, v1
	ds_read_b64 v[15:16], v15 offset:3088
	s_waitcnt lgkmcnt(2)
	v_fma_f64 v[17:18], v[5:6], v[7:8], 0
	s_waitcnt lgkmcnt(1)
	v_fma_f64 v[11:12], v[7:8], v[11:12], 0
	ds_read2_b64 v[5:8], v20 offset0:68 offset1:72
	s_waitcnt lgkmcnt(0)
	v_fma_f64 v[5:6], v[5:6], v[9:10], v[17:18]
	v_fma_f64 v[9:10], v[9:10], v[13:14], v[11:12]
	;; [unrolled: 1-line block ×4, first 2 shown]
	v_lshlrev_b32_e32 v7, 7, v2
	v_lshlrev_b32_e32 v8, 5, v1
	v_add3_u32 v7, v7, v8, v19
	ds_write2st64_b64 v7, v[5:6], v[3:4] offset0:3 offset1:4
	ds_write_b64 v7, v[3:4] offset:2560
.LBB0_16:
	s_or_b64 exec, exec, s[8:9]
	v_cmp_gt_u32_e64 s[10:11], 4, v2
	s_waitcnt lgkmcnt(0)
	; wave barrier
	s_and_saveexec_b64 s[16:17], s[10:11]
	s_cbranch_execz .LBB0_26
; %bb.17:
	v_cmp_gt_u32_e32 vcc, 4, v1
	s_and_b64 exec, exec, vcc
	s_cbranch_execz .LBB0_26
; %bb.18:
	v_cmp_gt_u32_e32 vcc, 4, v0
	s_and_b64 exec, exec, vcc
	s_cbranch_execz .LBB0_26
; %bb.19:
	s_load_dword s4, s[4:5], 0x28
	v_lshlrev_b32_e32 v45, 5, v1
	v_mov_b32_e32 v3, s15
	v_add_co_u32_e32 v4, vcc, s14, v45
	v_addc_co_u32_e32 v3, vcc, 0, v3, vcc
	v_lshlrev_b32_e32 v47, 7, v2
	v_add_co_u32_e32 v4, vcc, v4, v47
	v_lshlrev_b32_e32 v46, 3, v0
	v_addc_co_u32_e32 v3, vcc, 0, v3, vcc
	s_mul_hi_u32 s9, s6, 0x180
	s_mul_i32 s8, s6, 0x180
	s_waitcnt lgkmcnt(0)
	s_bitcmp1_b32 s4, 0
	v_add_co_u32_e32 v49, vcc, v4, v46
	s_cselect_b64 s[4:5], -1, 0
	v_addc_co_u32_e32 v48, vcc, 0, v3, vcc
	s_lshl_b64 s[14:15], s[8:9], 3
	v_mov_b32_e32 v3, s15
	v_add_co_u32_e32 v35, vcc, s14, v49
	v_addc_co_u32_e32 v36, vcc, v48, v3, vcc
	global_load_dwordx2 v[29:30], v[35:36], off offset:512
	global_load_dwordx2 v[25:26], v[35:36], off
	global_load_dwordx2 v[23:24], v[35:36], off offset:1024
	v_mov_b32_e32 v3, 0xc00
	v_add_u32_e32 v11, v45, v46
	v_mul_u32_u24_e32 v4, 24, v2
	v_mad_u32_u24 v7, v2, 24, v3
	v_add_u32_e32 v12, 0x400, v11
	v_add_u32_e32 v19, 0x800, v11
	ds_read_b64 v[27:28], v4 offset:3088
	ds_read2_b64 v[3:6], v11 offset0:192 offset1:208
	ds_read2_b64 v[7:10], v7 offset1:1
	ds_read_b64 v[31:32], v11 offset:2816
	ds_read2_b64 v[11:14], v12 offset0:96 offset1:128
	ds_read2_b64 v[15:18], v19 offset0:64 offset1:80
	;; [unrolled: 1-line block ×3, first 2 shown]
	s_xor_b64 s[20:21], s[4:5], -1
	s_and_b64 vcc, exec, s[4:5]
	s_waitcnt vmcnt(2)
	v_mov_b32_e32 v34, v30
	v_mov_b32_e32 v33, v29
	s_cbranch_vccnz .LBB0_21
; %bb.20:
	global_load_dwordx2 v[33:34], v[35:36], off offset:1536
.LBB0_21:
	v_add_co_u32_e32 v37, vcc, 0x600, v49
	v_addc_co_u32_e32 v38, vcc, 0, v48, vcc
	v_add_co_u32_e32 v39, vcc, 0x800, v49
	v_addc_co_u32_e32 v40, vcc, 0, v48, vcc
	v_cndmask_b32_e64 v37, v39, v37, s[4:5]
	v_cndmask_b32_e64 v38, v40, v38, s[4:5]
	v_mov_b32_e32 v41, s15
	v_add_co_u32_e32 v37, vcc, s14, v37
	v_addc_co_u32_e32 v38, vcc, v38, v41, vcc
	v_add_co_u32_e32 v50, vcc, 0xa00, v49
	v_addc_co_u32_e32 v51, vcc, 0, v48, vcc
	v_cndmask_b32_e64 v39, v50, v39, s[4:5]
	v_cndmask_b32_e64 v40, v51, v40, s[4:5]
	v_add_co_u32_e32 v39, vcc, s14, v39
	v_addc_co_u32_e32 v40, vcc, v40, v41, vcc
	global_load_dwordx2 v[37:38], v[37:38], off
	v_cndmask_b32_e64 v41, 0, 1, s[20:21]
	global_load_dwordx2 v[39:40], v[39:40], off
	v_cmp_ne_u32_e64 s[8:9], 1, v41
	s_waitcnt vmcnt(2)
	v_mov_b32_e32 v42, v24
	s_andn2_b64 vcc, exec, s[20:21]
	v_mov_b32_e32 v41, v23
	s_cbranch_vccnz .LBB0_23
; %bb.22:
	global_load_dwordx2 v[41:42], v[35:36], off offset:3072
.LBB0_23:
	s_waitcnt vmcnt(0)
	v_mov_b32_e32 v44, v40
	s_and_b64 vcc, exec, s[8:9]
	v_mov_b32_e32 v43, v39
	s_cbranch_vccnz .LBB0_25
; %bb.24:
	global_load_dwordx2 v[43:44], v[35:36], off offset:3584
.LBB0_25:
	v_add_co_u32_e32 v35, vcc, 0x1000, v49
	v_addc_co_u32_e32 v36, vcc, 0, v48, vcc
	v_cndmask_b32_e64 v35, v35, v50, s[4:5]
	v_cndmask_b32_e64 v36, v36, v51, s[4:5]
	v_mov_b32_e32 v48, s15
	v_add_co_u32_e32 v35, vcc, s14, v35
	v_addc_co_u32_e32 v36, vcc, v36, v48, vcc
	global_load_dwordx2 v[35:36], v[35:36], off
	s_waitcnt lgkmcnt(2)
	v_fma_f64 v[13:14], v[7:8], v[13:14], 0
	v_fma_f64 v[3:4], v[3:4], v[7:8], 0
	s_waitcnt lgkmcnt(1)
	v_fma_f64 v[7:8], v[7:8], v[15:16], 0
	s_waitcnt lgkmcnt(0)
	v_fma_f64 v[13:14], v[9:10], v[19:20], v[13:14]
	v_fma_f64 v[3:4], v[5:6], v[9:10], v[3:4]
	;; [unrolled: 1-line block ×6, first 2 shown]
	v_mul_f64 v[9:10], v[5:6], v[29:30]
	v_mul_f64 v[11:12], v[5:6], v[37:38]
	s_waitcnt vmcnt(1)
	v_mul_f64 v[5:6], v[5:6], v[43:44]
	v_fma_f64 v[9:10], v[3:4], v[25:26], v[9:10]
	v_fma_f64 v[11:12], v[3:4], v[33:34], v[11:12]
	;; [unrolled: 1-line block ×5, first 2 shown]
	s_waitcnt vmcnt(0)
	v_fma_f64 v[3:4], v[7:8], v[35:36], v[3:4]
	v_add3_u32 v7, v47, v45, v46
	ds_write2st64_b64 v7, v[5:6], v[9:10] offset1:1
	ds_write_b64 v7, v[3:4] offset:1024
.LBB0_26:
	s_or_b64 exec, exec, s[16:17]
	s_waitcnt lgkmcnt(0)
	; wave barrier
	s_and_saveexec_b64 s[4:5], s[2:3]
	s_cbranch_execz .LBB0_30
; %bb.27:
	v_cmp_gt_u32_e32 vcc, 3, v1
	s_and_b64 exec, exec, vcc
	s_cbranch_execz .LBB0_30
; %bb.28:
	v_cmp_gt_u32_e32 vcc, 4, v0
	s_and_b64 exec, exec, vcc
	s_cbranch_execz .LBB0_30
; %bb.29:
	v_lshlrev_b32_e32 v5, 5, v1
	v_lshlrev_b32_e32 v6, 3, v0
	v_or_b32_e32 v3, v5, v6
	global_load_dwordx2 v[3:4], v3, s[12:13]
	v_add_u32_e32 v5, v5, v6
	s_waitcnt vmcnt(0)
	ds_write_b64 v5, v[3:4] offset:3072
.LBB0_30:
	s_or_b64 exec, exec, s[4:5]
	s_waitcnt lgkmcnt(0)
	; wave barrier
	s_and_saveexec_b64 s[2:3], s[10:11]
	s_cbranch_execz .LBB0_34
; %bb.31:
	v_cmp_gt_u32_e32 vcc, 4, v1
	s_and_b64 exec, exec, vcc
	s_cbranch_execz .LBB0_34
; %bb.32:
	v_cmp_gt_u32_e32 vcc, 3, v0
	s_and_b64 exec, exec, vcc
	s_cbranch_execz .LBB0_34
; %bb.33:
	v_lshlrev_b32_e32 v3, 5, v1
	v_lshlrev_b32_e32 v19, 5, v0
	v_lshl_add_u32 v31, v2, 7, v3
	ds_read_b128 v[3:6], v19 offset:3072
	ds_read_b128 v[7:10], v31
	ds_read_b128 v[11:14], v31 offset:16
	ds_read_b128 v[15:18], v31 offset:512
	;; [unrolled: 1-line block ×4, first 2 shown]
	s_waitcnt lgkmcnt(4)
	v_fma_f64 v[7:8], v[7:8], v[3:4], 0
	ds_read_b128 v[27:30], v31 offset:528
	s_waitcnt lgkmcnt(3)
	v_fma_f64 v[15:16], v[3:4], v[15:16], 0
	ds_read_b128 v[31:34], v31 offset:1040
	s_waitcnt lgkmcnt(2)
	v_fma_f64 v[3:4], v[3:4], v[23:24], 0
	v_fma_f64 v[7:8], v[9:10], v[5:6], v[7:8]
	;; [unrolled: 1-line block ×5, first 2 shown]
	v_lshlrev_b32_e32 v11, 3, v0
	s_waitcnt lgkmcnt(1)
	v_fma_f64 v[7:8], v[19:20], v[27:28], v[9:10]
	v_mul_u32_u24_e32 v9, 0x60, v2
	s_waitcnt lgkmcnt(0)
	v_fma_f64 v[3:4], v[19:20], v[31:32], v[3:4]
	v_mul_u32_u24_e32 v10, 24, v1
	v_add3_u32 v9, v9, v10, v11
	v_fma_f64 v[5:6], v[13:14], v[21:22], v[5:6]
	v_fma_f64 v[7:8], v[21:22], v[29:30], v[7:8]
	;; [unrolled: 1-line block ×3, first 2 shown]
	ds_write2st64_b64 v9, v[5:6], v[7:8] offset0:3 offset1:4
	ds_write_b64 v9, v[3:4] offset:2560
.LBB0_34:
	s_or_b64 exec, exec, s[2:3]
	s_waitcnt lgkmcnt(0)
	; wave barrier
	s_and_saveexec_b64 s[2:3], s[10:11]
	s_cbranch_execz .LBB0_38
; %bb.35:
	v_cmp_gt_u32_e32 vcc, 3, v1
	s_and_b64 exec, exec, vcc
	s_cbranch_execz .LBB0_38
; %bb.36:
	v_cmp_gt_u32_e32 vcc, 3, v0
	s_and_b64 exec, exec, vcc
	s_cbranch_execz .LBB0_38
; %bb.37:
	v_lshlrev_b32_e32 v25, 3, v0
	s_movk_i32 s4, 0x60
	v_lshlrev_b32_e32 v19, 5, v1
	v_mad_u32_u24 v26, v2, s4, v25
	ds_read_b128 v[3:6], v19 offset:3072
	ds_read2_b64 v[7:10], v26 offset0:192 offset1:195
	v_add_u32_e32 v27, 0x800, v26
	ds_read2_b64 v[11:14], v27 offset1:3
	ds_read2_b64 v[15:18], v27 offset0:64 offset1:67
	ds_read_b128 v[19:22], v19 offset:3088
	s_waitcnt lgkmcnt(3)
	v_fma_f64 v[7:8], v[7:8], v[3:4], 0
	s_waitcnt lgkmcnt(2)
	v_fma_f64 v[11:12], v[3:4], v[11:12], 0
	;; [unrolled: 2-line block ×3, first 2 shown]
	v_fma_f64 v[15:16], v[9:10], v[5:6], v[7:8]
	v_fma_f64 v[23:24], v[5:6], v[13:14], v[11:12]
	;; [unrolled: 1-line block ×3, first 2 shown]
	ds_read2_b64 v[3:6], v26 offset0:198 offset1:201
	ds_read2_b64 v[7:10], v27 offset0:6 offset1:9
	;; [unrolled: 1-line block ×3, first 2 shown]
	s_waitcnt lgkmcnt(2)
	v_fma_f64 v[3:4], v[3:4], v[19:20], v[15:16]
	s_waitcnt lgkmcnt(1)
	v_fma_f64 v[7:8], v[19:20], v[7:8], v[23:24]
	s_waitcnt lgkmcnt(0)
	v_fma_f64 v[11:12], v[19:20], v[11:12], v[17:18]
	v_fma_f64 v[3:4], v[5:6], v[21:22], v[3:4]
	v_fma_f64 v[5:6], v[21:22], v[9:10], v[7:8]
	;; [unrolled: 1-line block ×3, first 2 shown]
	v_mul_u32_u24_e32 v9, 0x48, v2
	v_mul_u32_u24_e32 v10, 24, v1
	v_add3_u32 v9, v9, v10, v25
	ds_write2st64_b64 v9, v[3:4], v[5:6] offset1:1
	ds_write_b64 v9, v[7:8] offset:1024
.LBB0_38:
	s_or_b64 exec, exec, s[2:3]
	s_waitcnt lgkmcnt(0)
	; wave barrier
	s_and_saveexec_b64 s[2:3], s[0:1]
	s_cbranch_execz .LBB0_42
; %bb.39:
	v_cmp_gt_u32_e32 vcc, 3, v1
	s_and_b64 exec, exec, vcc
	s_cbranch_execz .LBB0_42
; %bb.40:
	v_cmp_gt_u32_e32 vcc, 3, v0
	s_and_b64 exec, exec, vcc
	s_cbranch_execz .LBB0_42
; %bb.41:
	v_mul_u32_u24_e32 v3, 24, v1
	v_mov_b32_e32 v4, s19
	v_add_co_u32_e32 v3, vcc, s18, v3
	v_lshlrev_b32_e32 v0, 3, v0
	v_addc_co_u32_e32 v4, vcc, 0, v4, vcc
	v_add_co_u32_e32 v3, vcc, v3, v0
	v_addc_co_u32_e32 v4, vcc, 0, v4, vcc
	s_movk_i32 s0, 0x48
	v_mad_u64_u32 v[3:4], s[0:1], v2, s0, v[3:4]
	v_mov_b32_e32 v5, 0xd8
	v_mad_u32_u24 v26, v1, 24, v0
	v_mad_u64_u32 v[20:21], s[0:1], s6, v5, v[3:4]
	v_lshlrev_b32_e32 v12, 5, v2
	global_load_dwordx2 v[22:23], v[20:21], off
	ds_read2_b64 v[0:3], v26 offset1:9
	ds_read_b128 v[4:7], v12 offset:3072
	ds_read2_b64 v[8:11], v26 offset0:64 offset1:73
	ds_read_b128 v[12:15], v12 offset:3088
	ds_read2_b64 v[16:19], v26 offset0:128 offset1:137
	s_waitcnt lgkmcnt(3)
	v_fma_f64 v[0:1], v[0:1], v[4:5], 0
	s_waitcnt lgkmcnt(2)
	v_fma_f64 v[8:9], v[4:5], v[8:9], 0
	;; [unrolled: 2-line block ×3, first 2 shown]
	v_fma_f64 v[16:17], v[2:3], v[6:7], v[0:1]
	v_fma_f64 v[24:25], v[6:7], v[10:11], v[8:9]
	ds_read2_b64 v[0:3], v26 offset0:18 offset1:27
	ds_read2_b64 v[8:11], v26 offset0:82 offset1:91
	v_fma_f64 v[18:19], v[6:7], v[18:19], v[4:5]
	ds_read2_b64 v[4:7], v26 offset0:146 offset1:155
	s_waitcnt lgkmcnt(2)
	v_fma_f64 v[0:1], v[0:1], v[12:13], v[16:17]
	s_waitcnt lgkmcnt(1)
	v_fma_f64 v[8:9], v[12:13], v[8:9], v[24:25]
	;; [unrolled: 2-line block ×3, first 2 shown]
	v_fma_f64 v[0:1], v[2:3], v[14:15], v[0:1]
	v_fma_f64 v[2:3], v[14:15], v[10:11], v[8:9]
	;; [unrolled: 1-line block ×3, first 2 shown]
	v_add_f64 v[0:1], v[0:1], v[2:3]
	v_add_f64 v[0:1], v[0:1], v[4:5]
	s_waitcnt vmcnt(0)
	v_add_f64 v[0:1], v[0:1], v[22:23]
	global_store_dwordx2 v[20:21], v[0:1], off
.LBB0_42:
	s_endpgm
	.section	.rodata,"a",@progbits
	.p2align	6, 0x0
	.amdhsa_kernel _ZN8rajaperf4apps13Diffusion3DPAILm64EEEvPdS2_S2_S2_S2_b
		.amdhsa_group_segment_fixed_size 3168
		.amdhsa_private_segment_fixed_size 0
		.amdhsa_kernarg_size 44
		.amdhsa_user_sgpr_count 6
		.amdhsa_user_sgpr_private_segment_buffer 1
		.amdhsa_user_sgpr_dispatch_ptr 0
		.amdhsa_user_sgpr_queue_ptr 0
		.amdhsa_user_sgpr_kernarg_segment_ptr 1
		.amdhsa_user_sgpr_dispatch_id 0
		.amdhsa_user_sgpr_flat_scratch_init 0
		.amdhsa_user_sgpr_private_segment_size 0
		.amdhsa_uses_dynamic_stack 0
		.amdhsa_system_sgpr_private_segment_wavefront_offset 0
		.amdhsa_system_sgpr_workgroup_id_x 1
		.amdhsa_system_sgpr_workgroup_id_y 0
		.amdhsa_system_sgpr_workgroup_id_z 0
		.amdhsa_system_sgpr_workgroup_info 0
		.amdhsa_system_vgpr_workitem_id 2
		.amdhsa_next_free_vgpr 52
		.amdhsa_next_free_sgpr 98
		.amdhsa_reserve_vcc 1
		.amdhsa_reserve_flat_scratch 0
		.amdhsa_float_round_mode_32 0
		.amdhsa_float_round_mode_16_64 0
		.amdhsa_float_denorm_mode_32 3
		.amdhsa_float_denorm_mode_16_64 3
		.amdhsa_dx10_clamp 1
		.amdhsa_ieee_mode 1
		.amdhsa_fp16_overflow 0
		.amdhsa_exception_fp_ieee_invalid_op 0
		.amdhsa_exception_fp_denorm_src 0
		.amdhsa_exception_fp_ieee_div_zero 0
		.amdhsa_exception_fp_ieee_overflow 0
		.amdhsa_exception_fp_ieee_underflow 0
		.amdhsa_exception_fp_ieee_inexact 0
		.amdhsa_exception_int_div_zero 0
	.end_amdhsa_kernel
	.section	.text._ZN8rajaperf4apps13Diffusion3DPAILm64EEEvPdS2_S2_S2_S2_b,"axG",@progbits,_ZN8rajaperf4apps13Diffusion3DPAILm64EEEvPdS2_S2_S2_S2_b,comdat
.Lfunc_end0:
	.size	_ZN8rajaperf4apps13Diffusion3DPAILm64EEEvPdS2_S2_S2_S2_b, .Lfunc_end0-_ZN8rajaperf4apps13Diffusion3DPAILm64EEEvPdS2_S2_S2_S2_b
                                        ; -- End function
	.set _ZN8rajaperf4apps13Diffusion3DPAILm64EEEvPdS2_S2_S2_S2_b.num_vgpr, 52
	.set _ZN8rajaperf4apps13Diffusion3DPAILm64EEEvPdS2_S2_S2_S2_b.num_agpr, 0
	.set _ZN8rajaperf4apps13Diffusion3DPAILm64EEEvPdS2_S2_S2_S2_b.numbered_sgpr, 22
	.set _ZN8rajaperf4apps13Diffusion3DPAILm64EEEvPdS2_S2_S2_S2_b.num_named_barrier, 0
	.set _ZN8rajaperf4apps13Diffusion3DPAILm64EEEvPdS2_S2_S2_S2_b.private_seg_size, 0
	.set _ZN8rajaperf4apps13Diffusion3DPAILm64EEEvPdS2_S2_S2_S2_b.uses_vcc, 1
	.set _ZN8rajaperf4apps13Diffusion3DPAILm64EEEvPdS2_S2_S2_S2_b.uses_flat_scratch, 0
	.set _ZN8rajaperf4apps13Diffusion3DPAILm64EEEvPdS2_S2_S2_S2_b.has_dyn_sized_stack, 0
	.set _ZN8rajaperf4apps13Diffusion3DPAILm64EEEvPdS2_S2_S2_S2_b.has_recursion, 0
	.set _ZN8rajaperf4apps13Diffusion3DPAILm64EEEvPdS2_S2_S2_S2_b.has_indirect_call, 0
	.section	.AMDGPU.csdata,"",@progbits
; Kernel info:
; codeLenInByte = 2304
; TotalNumSgprs: 26
; NumVgprs: 52
; ScratchSize: 0
; MemoryBound: 0
; FloatMode: 240
; IeeeMode: 1
; LDSByteSize: 3168 bytes/workgroup (compile time only)
; SGPRBlocks: 12
; VGPRBlocks: 12
; NumSGPRsForWavesPerEU: 102
; NumVGPRsForWavesPerEU: 52
; Occupancy: 4
; WaveLimiterHint : 1
; COMPUTE_PGM_RSRC2:SCRATCH_EN: 0
; COMPUTE_PGM_RSRC2:USER_SGPR: 6
; COMPUTE_PGM_RSRC2:TRAP_HANDLER: 0
; COMPUTE_PGM_RSRC2:TGID_X_EN: 1
; COMPUTE_PGM_RSRC2:TGID_Y_EN: 0
; COMPUTE_PGM_RSRC2:TGID_Z_EN: 0
; COMPUTE_PGM_RSRC2:TIDIG_COMP_CNT: 2
	.section	.text._ZN4RAJA34launch_new_reduce_global_fcn_fixedIZN8rajaperf4apps13DIFFUSION3DPA17runHipVariantImplILm64EEEvNS1_9VariantIDEEUlNS_14LaunchContextTINS_3hip33LaunchContextIndicesAndDimsPolicyINS7_14IndicesAndDimsILb0ELb0ELb0ELb0EEEEEEEE_Li64ENS_4expt15ForallParamPackIJEEEEEvT_T1_,"axG",@progbits,_ZN4RAJA34launch_new_reduce_global_fcn_fixedIZN8rajaperf4apps13DIFFUSION3DPA17runHipVariantImplILm64EEEvNS1_9VariantIDEEUlNS_14LaunchContextTINS_3hip33LaunchContextIndicesAndDimsPolicyINS7_14IndicesAndDimsILb0ELb0ELb0ELb0EEEEEEEE_Li64ENS_4expt15ForallParamPackIJEEEEEvT_T1_,comdat
	.protected	_ZN4RAJA34launch_new_reduce_global_fcn_fixedIZN8rajaperf4apps13DIFFUSION3DPA17runHipVariantImplILm64EEEvNS1_9VariantIDEEUlNS_14LaunchContextTINS_3hip33LaunchContextIndicesAndDimsPolicyINS7_14IndicesAndDimsILb0ELb0ELb0ELb0EEEEEEEE_Li64ENS_4expt15ForallParamPackIJEEEEEvT_T1_ ; -- Begin function _ZN4RAJA34launch_new_reduce_global_fcn_fixedIZN8rajaperf4apps13DIFFUSION3DPA17runHipVariantImplILm64EEEvNS1_9VariantIDEEUlNS_14LaunchContextTINS_3hip33LaunchContextIndicesAndDimsPolicyINS7_14IndicesAndDimsILb0ELb0ELb0ELb0EEEEEEEE_Li64ENS_4expt15ForallParamPackIJEEEEEvT_T1_
	.globl	_ZN4RAJA34launch_new_reduce_global_fcn_fixedIZN8rajaperf4apps13DIFFUSION3DPA17runHipVariantImplILm64EEEvNS1_9VariantIDEEUlNS_14LaunchContextTINS_3hip33LaunchContextIndicesAndDimsPolicyINS7_14IndicesAndDimsILb0ELb0ELb0ELb0EEEEEEEE_Li64ENS_4expt15ForallParamPackIJEEEEEvT_T1_
	.p2align	8
	.type	_ZN4RAJA34launch_new_reduce_global_fcn_fixedIZN8rajaperf4apps13DIFFUSION3DPA17runHipVariantImplILm64EEEvNS1_9VariantIDEEUlNS_14LaunchContextTINS_3hip33LaunchContextIndicesAndDimsPolicyINS7_14IndicesAndDimsILb0ELb0ELb0ELb0EEEEEEEE_Li64ENS_4expt15ForallParamPackIJEEEEEvT_T1_,@function
_ZN4RAJA34launch_new_reduce_global_fcn_fixedIZN8rajaperf4apps13DIFFUSION3DPA17runHipVariantImplILm64EEEvNS1_9VariantIDEEUlNS_14LaunchContextTINS_3hip33LaunchContextIndicesAndDimsPolicyINS7_14IndicesAndDimsILb0ELb0ELb0ELb0EEEEEEEE_Li64ENS_4expt15ForallParamPackIJEEEEEvT_T1_: ; @_ZN4RAJA34launch_new_reduce_global_fcn_fixedIZN8rajaperf4apps13DIFFUSION3DPA17runHipVariantImplILm64EEEvNS1_9VariantIDEEUlNS_14LaunchContextTINS_3hip33LaunchContextIndicesAndDimsPolicyINS7_14IndicesAndDimsILb0ELb0ELb0ELb0EEEEEEEE_Li64ENS_4expt15ForallParamPackIJEEEEEvT_T1_
; %bb.0:
	s_load_dwordx4 s[0:3], s[4:5], 0x0
	s_mov_b32 s7, 0
	v_mov_b32_e32 v3, s6
	v_mov_b32_e32 v4, s7
	s_waitcnt lgkmcnt(0)
	v_cmp_le_i64_e32 vcc, s[0:1], v[3:4]
	s_cbranch_vccnz .LBB1_37
; %bb.1:
	s_load_dwordx4 s[8:11], s[4:5], 0x18
	s_load_dwordx2 s[12:13], s[4:5], 0x28
	v_cmp_gt_u32_e32 vcc, 3, v2
	s_and_saveexec_b64 s[4:5], vcc
	s_cbranch_execz .LBB1_5
; %bb.2:
	v_cmp_gt_u32_e64 s[0:1], 3, v1
	s_and_b64 exec, exec, s[0:1]
	s_cbranch_execz .LBB1_5
; %bb.3:
	v_cmp_gt_u32_e64 s[0:1], 3, v0
	s_and_b64 exec, exec, s[0:1]
	s_cbranch_execz .LBB1_5
; %bb.4:
	v_lshlrev_b32_e32 v5, 3, v0
	v_mov_b32_e32 v3, s3
	v_add_co_u32_e64 v4, s[0:1], s2, v5
	v_addc_co_u32_e64 v6, s[0:1], 0, v3, s[0:1]
	v_mul_u32_u24_e32 v7, 24, v1
	v_add_co_u32_e64 v3, s[0:1], v4, v7
	v_addc_co_u32_e64 v4, s[0:1], 0, v6, s[0:1]
	s_movk_i32 s0, 0x48
	v_mad_u64_u32 v[3:4], s[0:1], v2, s0, v[3:4]
	v_mov_b32_e32 v6, 0xd8
	v_mad_u64_u32 v[3:4], s[0:1], s6, v6, v[3:4]
	v_mul_u32_u24_e32 v6, 0x48, v2
	v_add3_u32 v5, v6, v7, v5
	global_load_dwordx2 v[3:4], v[3:4], off
	s_waitcnt vmcnt(0)
	ds_write_b64 v5, v[3:4] offset:1024
.LBB1_5:
	s_or_b64 exec, exec, s[4:5]
	v_cmp_eq_u32_e64 s[0:1], 0, v2
	s_waitcnt lgkmcnt(0)
	; wave barrier
	s_and_saveexec_b64 s[4:5], s[0:1]
	s_cbranch_execz .LBB1_9
; %bb.6:
	v_cmp_gt_u32_e64 s[2:3], 3, v1
	s_and_b64 exec, exec, s[2:3]
	s_cbranch_execz .LBB1_9
; %bb.7:
	v_cmp_gt_u32_e64 s[2:3], 4, v0
	s_and_b64 exec, exec, s[2:3]
	s_cbranch_execz .LBB1_9
; %bb.8:
	v_lshlrev_b32_e32 v3, 3, v0
	v_mov_b32_e32 v4, s9
	v_add_co_u32_e64 v3, s[2:3], s8, v3
	v_addc_co_u32_e64 v4, s[2:3], 0, v4, s[2:3]
	v_lshlrev_b32_e32 v5, 5, v1
	v_add_co_u32_e64 v3, s[2:3], v3, v5
	v_addc_co_u32_e64 v4, s[2:3], 0, v4, s[2:3]
	global_load_dwordx2 v[3:4], v[3:4], off
	v_lshlrev_b32_e32 v5, 3, v1
	v_mad_u32_u24 v5, v0, 24, v5
	s_waitcnt vmcnt(0)
	ds_write_b64 v5, v[3:4] offset:3072
.LBB1_9:
	s_or_b64 exec, exec, s[4:5]
	s_waitcnt lgkmcnt(0)
	; wave barrier
	s_and_saveexec_b64 s[4:5], vcc
	s_cbranch_execz .LBB1_13
; %bb.10:
	v_cmp_gt_u32_e64 s[2:3], 3, v1
	s_and_b64 exec, exec, s[2:3]
	s_cbranch_execz .LBB1_13
; %bb.11:
	v_cmp_gt_u32_e64 s[2:3], 4, v0
	s_and_b64 exec, exec, s[2:3]
	s_cbranch_execz .LBB1_13
; %bb.12:
	v_mul_u32_u24_e32 v3, 24, v1
	s_movk_i32 s2, 0x48
	v_mad_u32_u24 v11, v2, s2, v3
	v_mov_b32_e32 v3, 0xc00
	v_mad_u32_u24 v7, v0, 24, v3
	ds_read2_b64 v[3:6], v11 offset0:128 offset1:129
	ds_read2_b64 v[7:10], v7 offset1:1
	v_mul_u32_u24_e32 v13, 24, v0
	ds_read_b64 v[11:12], v11 offset:1040
	ds_read_b64 v[13:14], v13 offset:3088
	s_waitcnt lgkmcnt(2)
	v_fma_f64 v[3:4], v[3:4], v[7:8], 0
	v_lshlrev_b32_e32 v7, 3, v0
	v_fma_f64 v[3:4], v[5:6], v[9:10], v[3:4]
	v_mul_u32_u24_e32 v5, 24, v2
	v_mad_u32_u24 v5, v2, s2, v5
	v_lshlrev_b32_e32 v6, 5, v1
	v_add3_u32 v5, v5, v6, v7
	s_waitcnt lgkmcnt(0)
	v_fma_f64 v[3:4], v[11:12], v[13:14], v[3:4]
	ds_write2st64_b64 v5, v[3:4], v[3:4] offset1:1
.LBB1_13:
	s_or_b64 exec, exec, s[4:5]
	s_waitcnt lgkmcnt(0)
	; wave barrier
	s_and_saveexec_b64 s[4:5], vcc
	s_cbranch_execz .LBB1_17
; %bb.14:
	v_cmp_gt_u32_e64 s[2:3], 4, v1
	s_and_b64 exec, exec, s[2:3]
	s_cbranch_execz .LBB1_17
; %bb.15:
	v_cmp_gt_u32_e64 s[2:3], 4, v0
	s_and_b64 exec, exec, s[2:3]
	s_cbranch_execz .LBB1_17
; %bb.16:
	v_lshlrev_b32_e32 v19, 3, v0
	s_movk_i32 s2, 0x60
	v_mov_b32_e32 v3, 0xc00
	v_mad_u32_u24 v20, v2, s2, v19
	v_mad_u32_u24 v7, v1, 24, v3
	ds_read2_b64 v[3:6], v20 offset0:8 offset1:64
	ds_read2_b64 v[7:10], v7 offset1:1
	ds_read2_b64 v[11:14], v20 offset1:4
	v_mul_u32_u24_e32 v15, 24, v1
	ds_read_b64 v[15:16], v15 offset:3088
	s_waitcnt lgkmcnt(2)
	v_fma_f64 v[17:18], v[5:6], v[7:8], 0
	s_waitcnt lgkmcnt(1)
	v_fma_f64 v[11:12], v[7:8], v[11:12], 0
	ds_read2_b64 v[5:8], v20 offset0:68 offset1:72
	s_waitcnt lgkmcnt(0)
	v_fma_f64 v[5:6], v[5:6], v[9:10], v[17:18]
	v_fma_f64 v[9:10], v[9:10], v[13:14], v[11:12]
	;; [unrolled: 1-line block ×4, first 2 shown]
	v_lshlrev_b32_e32 v7, 7, v2
	v_lshlrev_b32_e32 v8, 5, v1
	v_add3_u32 v7, v7, v8, v19
	ds_write2st64_b64 v7, v[5:6], v[3:4] offset0:3 offset1:4
	ds_write_b64 v7, v[3:4] offset:2560
.LBB1_17:
	s_or_b64 exec, exec, s[4:5]
	v_cmp_gt_u32_e64 s[2:3], 4, v2
	s_waitcnt lgkmcnt(0)
	; wave barrier
	s_and_saveexec_b64 s[14:15], s[2:3]
	s_cbranch_execz .LBB1_21
; %bb.18:
	v_cmp_gt_u32_e64 s[4:5], 4, v1
	s_and_b64 exec, exec, s[4:5]
	s_cbranch_execz .LBB1_21
; %bb.19:
	v_cmp_gt_u32_e64 s[4:5], 4, v0
	s_and_b64 exec, exec, s[4:5]
	s_cbranch_execz .LBB1_21
; %bb.20:
	v_lshlrev_b32_e32 v38, 3, v0
	v_mov_b32_e32 v3, s11
	v_add_co_u32_e64 v4, s[4:5], s10, v38
	v_lshlrev_b32_e32 v37, 5, v1
	v_addc_co_u32_e64 v3, s[4:5], 0, v3, s[4:5]
	v_add_co_u32_e64 v4, s[4:5], v4, v37
	v_addc_co_u32_e64 v6, s[4:5], 0, v3, s[4:5]
	v_lshlrev_b32_e32 v39, 7, v2
	v_add_co_u32_e64 v3, s[4:5], v4, v39
	v_mov_b32_e32 v5, 0xc00
	v_addc_co_u32_e64 v4, s[4:5], 0, v6, s[4:5]
	v_mad_u64_u32 v[3:4], s[4:5], s6, v5, v[3:4]
	global_load_dwordx2 v[19:20], v[3:4], off offset:512
	global_load_dwordx2 v[21:22], v[3:4], off offset:1536
	;; [unrolled: 1-line block ×3, first 2 shown]
	global_load_dwordx2 v[25:26], v[3:4], off
	global_load_dwordx2 v[27:28], v[3:4], off offset:1024
	global_load_dwordx2 v[29:30], v[3:4], off offset:2560
	v_mad_u32_u24 v3, v2, 24, v5
	v_add_u32_e32 v15, v37, v38
	ds_read2_b64 v[3:6], v3 offset1:1
	v_add_u32_e32 v7, 0x400, v15
	ds_read2_b64 v[7:10], v7 offset0:96 offset1:128
	ds_read2_b64 v[11:14], v15 offset0:192 offset1:208
	ds_read_b64 v[31:32], v15 offset:2816
	v_add_u32_e32 v15, 0x800, v15
	s_waitcnt lgkmcnt(2)
	v_fma_f64 v[33:34], v[3:4], v[9:10], 0
	s_waitcnt lgkmcnt(1)
	v_fma_f64 v[35:36], v[11:12], v[3:4], 0
	ds_read2_b64 v[9:12], v15 offset0:16 offset1:32
	ds_read2_b64 v[15:18], v15 offset0:64 offset1:80
	s_waitcnt lgkmcnt(0)
	v_fma_f64 v[3:4], v[3:4], v[15:16], 0
	v_fma_f64 v[9:10], v[5:6], v[9:10], v[33:34]
	v_mul_u32_u24_e32 v33, 24, v2
	ds_read_b64 v[33:34], v33 offset:3088
	v_fma_f64 v[13:14], v[13:14], v[5:6], v[35:36]
	v_fma_f64 v[3:4], v[5:6], v[17:18], v[3:4]
	s_waitcnt lgkmcnt(0)
	v_fma_f64 v[9:10], v[33:34], v[11:12], v[9:10]
	v_fma_f64 v[5:6], v[7:8], v[33:34], v[13:14]
	;; [unrolled: 1-line block ×3, first 2 shown]
	s_waitcnt vmcnt(5)
	v_mul_f64 v[7:8], v[9:10], v[19:20]
	s_waitcnt vmcnt(4)
	v_mul_f64 v[11:12], v[9:10], v[21:22]
	;; [unrolled: 2-line block ×3, first 2 shown]
	s_waitcnt vmcnt(2)
	v_fma_f64 v[7:8], v[5:6], v[25:26], v[7:8]
	v_fma_f64 v[11:12], v[5:6], v[19:20], v[11:12]
	s_waitcnt vmcnt(1)
	v_fma_f64 v[5:6], v[5:6], v[27:28], v[9:10]
	v_fma_f64 v[7:8], v[3:4], v[27:28], v[7:8]
	;; [unrolled: 1-line block ×3, first 2 shown]
	s_waitcnt vmcnt(0)
	v_fma_f64 v[3:4], v[3:4], v[29:30], v[5:6]
	v_add3_u32 v5, v39, v37, v38
	ds_write2st64_b64 v5, v[7:8], v[9:10] offset1:1
	ds_write_b64 v5, v[3:4] offset:1024
.LBB1_21:
	s_or_b64 exec, exec, s[14:15]
	s_waitcnt lgkmcnt(0)
	; wave barrier
	s_and_saveexec_b64 s[4:5], s[0:1]
	s_cbranch_execz .LBB1_25
; %bb.22:
	v_cmp_gt_u32_e64 s[0:1], 3, v1
	s_and_b64 exec, exec, s[0:1]
	s_cbranch_execz .LBB1_25
; %bb.23:
	v_cmp_gt_u32_e64 s[0:1], 4, v0
	s_and_b64 exec, exec, s[0:1]
	s_cbranch_execz .LBB1_25
; %bb.24:
	v_lshlrev_b32_e32 v5, 3, v0
	v_mov_b32_e32 v3, s9
	v_add_co_u32_e64 v4, s[0:1], s8, v5
	v_addc_co_u32_e64 v6, s[0:1], 0, v3, s[0:1]
	v_lshlrev_b32_e32 v7, 5, v1
	v_add_co_u32_e64 v3, s[0:1], v4, v7
	v_addc_co_u32_e64 v4, s[0:1], 0, v6, s[0:1]
	global_load_dwordx2 v[3:4], v[3:4], off
	v_add_u32_e32 v5, v7, v5
	s_waitcnt vmcnt(0)
	ds_write_b64 v5, v[3:4] offset:3072
.LBB1_25:
	s_or_b64 exec, exec, s[4:5]
	s_waitcnt lgkmcnt(0)
	; wave barrier
	s_and_saveexec_b64 s[4:5], s[2:3]
	s_cbranch_execz .LBB1_29
; %bb.26:
	v_cmp_gt_u32_e64 s[0:1], 4, v1
	s_and_b64 exec, exec, s[0:1]
	s_cbranch_execz .LBB1_29
; %bb.27:
	v_cmp_gt_u32_e64 s[0:1], 3, v0
	s_and_b64 exec, exec, s[0:1]
	s_cbranch_execz .LBB1_29
; %bb.28:
	v_lshlrev_b32_e32 v3, 5, v1
	v_lshlrev_b32_e32 v19, 5, v0
	v_lshl_add_u32 v31, v2, 7, v3
	ds_read_b128 v[3:6], v19 offset:3072
	ds_read_b128 v[7:10], v31
	ds_read_b128 v[11:14], v31 offset:16
	ds_read_b128 v[15:18], v31 offset:512
	;; [unrolled: 1-line block ×4, first 2 shown]
	s_waitcnt lgkmcnt(4)
	v_fma_f64 v[7:8], v[7:8], v[3:4], 0
	ds_read_b128 v[27:30], v31 offset:528
	s_waitcnt lgkmcnt(3)
	v_fma_f64 v[15:16], v[3:4], v[15:16], 0
	ds_read_b128 v[31:34], v31 offset:1040
	s_waitcnt lgkmcnt(2)
	v_fma_f64 v[3:4], v[3:4], v[23:24], 0
	v_fma_f64 v[7:8], v[9:10], v[5:6], v[7:8]
	;; [unrolled: 1-line block ×5, first 2 shown]
	v_lshlrev_b32_e32 v11, 3, v0
	s_waitcnt lgkmcnt(1)
	v_fma_f64 v[7:8], v[19:20], v[27:28], v[9:10]
	v_mul_u32_u24_e32 v9, 0x60, v2
	s_waitcnt lgkmcnt(0)
	v_fma_f64 v[3:4], v[19:20], v[31:32], v[3:4]
	v_mul_u32_u24_e32 v10, 24, v1
	v_add3_u32 v9, v9, v10, v11
	v_fma_f64 v[5:6], v[13:14], v[21:22], v[5:6]
	v_fma_f64 v[7:8], v[21:22], v[29:30], v[7:8]
	;; [unrolled: 1-line block ×3, first 2 shown]
	ds_write2st64_b64 v9, v[5:6], v[7:8] offset0:3 offset1:4
	ds_write_b64 v9, v[3:4] offset:2560
.LBB1_29:
	s_or_b64 exec, exec, s[4:5]
	s_waitcnt lgkmcnt(0)
	; wave barrier
	s_and_saveexec_b64 s[4:5], s[2:3]
	s_cbranch_execz .LBB1_33
; %bb.30:
	v_cmp_gt_u32_e64 s[0:1], 3, v1
	s_and_b64 exec, exec, s[0:1]
	s_cbranch_execz .LBB1_33
; %bb.31:
	v_cmp_gt_u32_e64 s[0:1], 3, v0
	s_and_b64 exec, exec, s[0:1]
	s_cbranch_execz .LBB1_33
; %bb.32:
	v_lshlrev_b32_e32 v25, 3, v0
	s_movk_i32 s0, 0x60
	v_lshlrev_b32_e32 v19, 5, v1
	v_mad_u32_u24 v26, v2, s0, v25
	ds_read_b128 v[3:6], v19 offset:3072
	ds_read2_b64 v[7:10], v26 offset0:192 offset1:195
	v_add_u32_e32 v27, 0x800, v26
	ds_read2_b64 v[11:14], v27 offset1:3
	ds_read2_b64 v[15:18], v27 offset0:64 offset1:67
	ds_read_b128 v[19:22], v19 offset:3088
	s_waitcnt lgkmcnt(3)
	v_fma_f64 v[7:8], v[7:8], v[3:4], 0
	s_waitcnt lgkmcnt(2)
	v_fma_f64 v[11:12], v[3:4], v[11:12], 0
	;; [unrolled: 2-line block ×3, first 2 shown]
	v_fma_f64 v[15:16], v[9:10], v[5:6], v[7:8]
	v_fma_f64 v[23:24], v[5:6], v[13:14], v[11:12]
	;; [unrolled: 1-line block ×3, first 2 shown]
	ds_read2_b64 v[3:6], v26 offset0:198 offset1:201
	ds_read2_b64 v[7:10], v27 offset0:6 offset1:9
	;; [unrolled: 1-line block ×3, first 2 shown]
	s_waitcnt lgkmcnt(2)
	v_fma_f64 v[3:4], v[3:4], v[19:20], v[15:16]
	s_waitcnt lgkmcnt(1)
	v_fma_f64 v[7:8], v[19:20], v[7:8], v[23:24]
	;; [unrolled: 2-line block ×3, first 2 shown]
	v_fma_f64 v[3:4], v[5:6], v[21:22], v[3:4]
	v_fma_f64 v[5:6], v[21:22], v[9:10], v[7:8]
	;; [unrolled: 1-line block ×3, first 2 shown]
	v_mul_u32_u24_e32 v9, 0x48, v2
	v_mul_u32_u24_e32 v10, 24, v1
	v_add3_u32 v9, v9, v10, v25
	ds_write2st64_b64 v9, v[3:4], v[5:6] offset1:1
	ds_write_b64 v9, v[7:8] offset:1024
.LBB1_33:
	s_or_b64 exec, exec, s[4:5]
	s_waitcnt lgkmcnt(0)
	; wave barrier
	s_and_saveexec_b64 s[0:1], vcc
	s_cbranch_execz .LBB1_37
; %bb.34:
	v_cmp_gt_u32_e32 vcc, 3, v1
	s_and_b64 exec, exec, vcc
	s_cbranch_execz .LBB1_37
; %bb.35:
	v_cmp_gt_u32_e32 vcc, 3, v0
	s_and_b64 exec, exec, vcc
	s_cbranch_execz .LBB1_37
; %bb.36:
	v_lshlrev_b32_e32 v0, 3, v0
	v_mov_b32_e32 v4, s13
	v_add_co_u32_e32 v5, vcc, s12, v0
	v_mul_u32_u24_e32 v3, 24, v1
	v_addc_co_u32_e32 v4, vcc, 0, v4, vcc
	v_add_co_u32_e32 v3, vcc, v5, v3
	v_addc_co_u32_e32 v4, vcc, 0, v4, vcc
	s_movk_i32 s0, 0x48
	v_mad_u64_u32 v[3:4], s[0:1], v2, s0, v[3:4]
	v_mov_b32_e32 v5, 0xd8
	v_mad_u32_u24 v26, v1, 24, v0
	v_mad_u64_u32 v[20:21], s[0:1], s6, v5, v[3:4]
	v_lshlrev_b32_e32 v12, 5, v2
	global_load_dwordx2 v[22:23], v[20:21], off
	ds_read2_b64 v[0:3], v26 offset1:9
	ds_read_b128 v[4:7], v12 offset:3072
	ds_read2_b64 v[8:11], v26 offset0:64 offset1:73
	ds_read_b128 v[12:15], v12 offset:3088
	ds_read2_b64 v[16:19], v26 offset0:128 offset1:137
	s_waitcnt lgkmcnt(3)
	v_fma_f64 v[0:1], v[0:1], v[4:5], 0
	s_waitcnt lgkmcnt(2)
	v_fma_f64 v[8:9], v[4:5], v[8:9], 0
	;; [unrolled: 2-line block ×3, first 2 shown]
	v_fma_f64 v[16:17], v[2:3], v[6:7], v[0:1]
	v_fma_f64 v[24:25], v[6:7], v[10:11], v[8:9]
	ds_read2_b64 v[0:3], v26 offset0:18 offset1:27
	ds_read2_b64 v[8:11], v26 offset0:82 offset1:91
	v_fma_f64 v[18:19], v[6:7], v[18:19], v[4:5]
	ds_read2_b64 v[4:7], v26 offset0:146 offset1:155
	s_waitcnt lgkmcnt(2)
	v_fma_f64 v[0:1], v[0:1], v[12:13], v[16:17]
	s_waitcnt lgkmcnt(1)
	v_fma_f64 v[8:9], v[12:13], v[8:9], v[24:25]
	;; [unrolled: 2-line block ×3, first 2 shown]
	v_fma_f64 v[0:1], v[2:3], v[14:15], v[0:1]
	v_fma_f64 v[2:3], v[14:15], v[10:11], v[8:9]
	;; [unrolled: 1-line block ×3, first 2 shown]
	v_add_f64 v[0:1], v[0:1], v[2:3]
	v_add_f64 v[0:1], v[0:1], v[4:5]
	s_waitcnt vmcnt(0)
	v_add_f64 v[0:1], v[22:23], v[0:1]
	global_store_dwordx2 v[20:21], v[0:1], off
.LBB1_37:
	s_endpgm
	.section	.rodata,"a",@progbits
	.p2align	6, 0x0
	.amdhsa_kernel _ZN4RAJA34launch_new_reduce_global_fcn_fixedIZN8rajaperf4apps13DIFFUSION3DPA17runHipVariantImplILm64EEEvNS1_9VariantIDEEUlNS_14LaunchContextTINS_3hip33LaunchContextIndicesAndDimsPolicyINS7_14IndicesAndDimsILb0ELb0ELb0ELb0EEEEEEEE_Li64ENS_4expt15ForallParamPackIJEEEEEvT_T1_
		.amdhsa_group_segment_fixed_size 3168
		.amdhsa_private_segment_fixed_size 0
		.amdhsa_kernarg_size 52
		.amdhsa_user_sgpr_count 6
		.amdhsa_user_sgpr_private_segment_buffer 1
		.amdhsa_user_sgpr_dispatch_ptr 0
		.amdhsa_user_sgpr_queue_ptr 0
		.amdhsa_user_sgpr_kernarg_segment_ptr 1
		.amdhsa_user_sgpr_dispatch_id 0
		.amdhsa_user_sgpr_flat_scratch_init 0
		.amdhsa_user_sgpr_private_segment_size 0
		.amdhsa_uses_dynamic_stack 0
		.amdhsa_system_sgpr_private_segment_wavefront_offset 0
		.amdhsa_system_sgpr_workgroup_id_x 1
		.amdhsa_system_sgpr_workgroup_id_y 0
		.amdhsa_system_sgpr_workgroup_id_z 0
		.amdhsa_system_sgpr_workgroup_info 0
		.amdhsa_system_vgpr_workitem_id 2
		.amdhsa_next_free_vgpr 41
		.amdhsa_next_free_sgpr 98
		.amdhsa_reserve_vcc 1
		.amdhsa_reserve_flat_scratch 0
		.amdhsa_float_round_mode_32 0
		.amdhsa_float_round_mode_16_64 0
		.amdhsa_float_denorm_mode_32 3
		.amdhsa_float_denorm_mode_16_64 3
		.amdhsa_dx10_clamp 1
		.amdhsa_ieee_mode 1
		.amdhsa_fp16_overflow 0
		.amdhsa_exception_fp_ieee_invalid_op 0
		.amdhsa_exception_fp_denorm_src 0
		.amdhsa_exception_fp_ieee_div_zero 0
		.amdhsa_exception_fp_ieee_overflow 0
		.amdhsa_exception_fp_ieee_underflow 0
		.amdhsa_exception_fp_ieee_inexact 0
		.amdhsa_exception_int_div_zero 0
	.end_amdhsa_kernel
	.section	.text._ZN4RAJA34launch_new_reduce_global_fcn_fixedIZN8rajaperf4apps13DIFFUSION3DPA17runHipVariantImplILm64EEEvNS1_9VariantIDEEUlNS_14LaunchContextTINS_3hip33LaunchContextIndicesAndDimsPolicyINS7_14IndicesAndDimsILb0ELb0ELb0ELb0EEEEEEEE_Li64ENS_4expt15ForallParamPackIJEEEEEvT_T1_,"axG",@progbits,_ZN4RAJA34launch_new_reduce_global_fcn_fixedIZN8rajaperf4apps13DIFFUSION3DPA17runHipVariantImplILm64EEEvNS1_9VariantIDEEUlNS_14LaunchContextTINS_3hip33LaunchContextIndicesAndDimsPolicyINS7_14IndicesAndDimsILb0ELb0ELb0ELb0EEEEEEEE_Li64ENS_4expt15ForallParamPackIJEEEEEvT_T1_,comdat
.Lfunc_end1:
	.size	_ZN4RAJA34launch_new_reduce_global_fcn_fixedIZN8rajaperf4apps13DIFFUSION3DPA17runHipVariantImplILm64EEEvNS1_9VariantIDEEUlNS_14LaunchContextTINS_3hip33LaunchContextIndicesAndDimsPolicyINS7_14IndicesAndDimsILb0ELb0ELb0ELb0EEEEEEEE_Li64ENS_4expt15ForallParamPackIJEEEEEvT_T1_, .Lfunc_end1-_ZN4RAJA34launch_new_reduce_global_fcn_fixedIZN8rajaperf4apps13DIFFUSION3DPA17runHipVariantImplILm64EEEvNS1_9VariantIDEEUlNS_14LaunchContextTINS_3hip33LaunchContextIndicesAndDimsPolicyINS7_14IndicesAndDimsILb0ELb0ELb0ELb0EEEEEEEE_Li64ENS_4expt15ForallParamPackIJEEEEEvT_T1_
                                        ; -- End function
	.set _ZN4RAJA34launch_new_reduce_global_fcn_fixedIZN8rajaperf4apps13DIFFUSION3DPA17runHipVariantImplILm64EEEvNS1_9VariantIDEEUlNS_14LaunchContextTINS_3hip33LaunchContextIndicesAndDimsPolicyINS7_14IndicesAndDimsILb0ELb0ELb0ELb0EEEEEEEE_Li64ENS_4expt15ForallParamPackIJEEEEEvT_T1_.num_vgpr, 40
	.set _ZN4RAJA34launch_new_reduce_global_fcn_fixedIZN8rajaperf4apps13DIFFUSION3DPA17runHipVariantImplILm64EEEvNS1_9VariantIDEEUlNS_14LaunchContextTINS_3hip33LaunchContextIndicesAndDimsPolicyINS7_14IndicesAndDimsILb0ELb0ELb0ELb0EEEEEEEE_Li64ENS_4expt15ForallParamPackIJEEEEEvT_T1_.num_agpr, 0
	.set _ZN4RAJA34launch_new_reduce_global_fcn_fixedIZN8rajaperf4apps13DIFFUSION3DPA17runHipVariantImplILm64EEEvNS1_9VariantIDEEUlNS_14LaunchContextTINS_3hip33LaunchContextIndicesAndDimsPolicyINS7_14IndicesAndDimsILb0ELb0ELb0ELb0EEEEEEEE_Li64ENS_4expt15ForallParamPackIJEEEEEvT_T1_.numbered_sgpr, 16
	.set _ZN4RAJA34launch_new_reduce_global_fcn_fixedIZN8rajaperf4apps13DIFFUSION3DPA17runHipVariantImplILm64EEEvNS1_9VariantIDEEUlNS_14LaunchContextTINS_3hip33LaunchContextIndicesAndDimsPolicyINS7_14IndicesAndDimsILb0ELb0ELb0ELb0EEEEEEEE_Li64ENS_4expt15ForallParamPackIJEEEEEvT_T1_.num_named_barrier, 0
	.set _ZN4RAJA34launch_new_reduce_global_fcn_fixedIZN8rajaperf4apps13DIFFUSION3DPA17runHipVariantImplILm64EEEvNS1_9VariantIDEEUlNS_14LaunchContextTINS_3hip33LaunchContextIndicesAndDimsPolicyINS7_14IndicesAndDimsILb0ELb0ELb0ELb0EEEEEEEE_Li64ENS_4expt15ForallParamPackIJEEEEEvT_T1_.private_seg_size, 0
	.set _ZN4RAJA34launch_new_reduce_global_fcn_fixedIZN8rajaperf4apps13DIFFUSION3DPA17runHipVariantImplILm64EEEvNS1_9VariantIDEEUlNS_14LaunchContextTINS_3hip33LaunchContextIndicesAndDimsPolicyINS7_14IndicesAndDimsILb0ELb0ELb0ELb0EEEEEEEE_Li64ENS_4expt15ForallParamPackIJEEEEEvT_T1_.uses_vcc, 1
	.set _ZN4RAJA34launch_new_reduce_global_fcn_fixedIZN8rajaperf4apps13DIFFUSION3DPA17runHipVariantImplILm64EEEvNS1_9VariantIDEEUlNS_14LaunchContextTINS_3hip33LaunchContextIndicesAndDimsPolicyINS7_14IndicesAndDimsILb0ELb0ELb0ELb0EEEEEEEE_Li64ENS_4expt15ForallParamPackIJEEEEEvT_T1_.uses_flat_scratch, 0
	.set _ZN4RAJA34launch_new_reduce_global_fcn_fixedIZN8rajaperf4apps13DIFFUSION3DPA17runHipVariantImplILm64EEEvNS1_9VariantIDEEUlNS_14LaunchContextTINS_3hip33LaunchContextIndicesAndDimsPolicyINS7_14IndicesAndDimsILb0ELb0ELb0ELb0EEEEEEEE_Li64ENS_4expt15ForallParamPackIJEEEEEvT_T1_.has_dyn_sized_stack, 0
	.set _ZN4RAJA34launch_new_reduce_global_fcn_fixedIZN8rajaperf4apps13DIFFUSION3DPA17runHipVariantImplILm64EEEvNS1_9VariantIDEEUlNS_14LaunchContextTINS_3hip33LaunchContextIndicesAndDimsPolicyINS7_14IndicesAndDimsILb0ELb0ELb0ELb0EEEEEEEE_Li64ENS_4expt15ForallParamPackIJEEEEEvT_T1_.has_recursion, 0
	.set _ZN4RAJA34launch_new_reduce_global_fcn_fixedIZN8rajaperf4apps13DIFFUSION3DPA17runHipVariantImplILm64EEEvNS1_9VariantIDEEUlNS_14LaunchContextTINS_3hip33LaunchContextIndicesAndDimsPolicyINS7_14IndicesAndDimsILb0ELb0ELb0ELb0EEEEEEEE_Li64ENS_4expt15ForallParamPackIJEEEEEvT_T1_.has_indirect_call, 0
	.section	.AMDGPU.csdata,"",@progbits
; Kernel info:
; codeLenInByte = 2248
; TotalNumSgprs: 20
; NumVgprs: 40
; ScratchSize: 0
; MemoryBound: 0
; FloatMode: 240
; IeeeMode: 1
; LDSByteSize: 3168 bytes/workgroup (compile time only)
; SGPRBlocks: 12
; VGPRBlocks: 10
; NumSGPRsForWavesPerEU: 102
; NumVGPRsForWavesPerEU: 41
; Occupancy: 5
; WaveLimiterHint : 1
; COMPUTE_PGM_RSRC2:SCRATCH_EN: 0
; COMPUTE_PGM_RSRC2:USER_SGPR: 6
; COMPUTE_PGM_RSRC2:TRAP_HANDLER: 0
; COMPUTE_PGM_RSRC2:TGID_X_EN: 1
; COMPUTE_PGM_RSRC2:TGID_Y_EN: 0
; COMPUTE_PGM_RSRC2:TGID_Z_EN: 0
; COMPUTE_PGM_RSRC2:TIDIG_COMP_CNT: 2
	.section	.AMDGPU.gpr_maximums,"",@progbits
	.set amdgpu.max_num_vgpr, 0
	.set amdgpu.max_num_agpr, 0
	.set amdgpu.max_num_sgpr, 0
	.section	.AMDGPU.csdata,"",@progbits
	.type	__hip_cuid_19a39cb769b840,@object ; @__hip_cuid_19a39cb769b840
	.section	.bss,"aw",@nobits
	.globl	__hip_cuid_19a39cb769b840
__hip_cuid_19a39cb769b840:
	.byte	0                               ; 0x0
	.size	__hip_cuid_19a39cb769b840, 1

	.ident	"AMD clang version 22.0.0git (https://github.com/RadeonOpenCompute/llvm-project roc-7.2.4 26084 f58b06dce1f9c15707c5f808fd002e18c2accf7e)"
	.section	".note.GNU-stack","",@progbits
	.addrsig
	.addrsig_sym __hip_cuid_19a39cb769b840
	.amdgpu_metadata
---
amdhsa.kernels:
  - .args:
      - .address_space:  global
        .offset:         0
        .size:           8
        .value_kind:     global_buffer
      - .address_space:  global
        .offset:         8
        .size:           8
        .value_kind:     global_buffer
      - .address_space:  global
        .offset:         16
        .size:           8
        .value_kind:     global_buffer
      - .address_space:  global
        .offset:         24
        .size:           8
        .value_kind:     global_buffer
      - .address_space:  global
        .offset:         32
        .size:           8
        .value_kind:     global_buffer
      - .offset:         40
        .size:           1
        .value_kind:     by_value
    .group_segment_fixed_size: 3168
    .kernarg_segment_align: 8
    .kernarg_segment_size: 44
    .language:       OpenCL C
    .language_version:
      - 2
      - 0
    .max_flat_workgroup_size: 64
    .name:           _ZN8rajaperf4apps13Diffusion3DPAILm64EEEvPdS2_S2_S2_S2_b
    .private_segment_fixed_size: 0
    .sgpr_count:     26
    .sgpr_spill_count: 0
    .symbol:         _ZN8rajaperf4apps13Diffusion3DPAILm64EEEvPdS2_S2_S2_S2_b.kd
    .uniform_work_group_size: 1
    .uses_dynamic_stack: false
    .vgpr_count:     52
    .vgpr_spill_count: 0
    .wavefront_size: 64
  - .args:
      - .offset:         0
        .size:           48
        .value_kind:     by_value
      - .offset:         48
        .size:           1
        .value_kind:     by_value
    .group_segment_fixed_size: 3168
    .kernarg_segment_align: 8
    .kernarg_segment_size: 52
    .language:       OpenCL C
    .language_version:
      - 2
      - 0
    .max_flat_workgroup_size: 64
    .name:           _ZN4RAJA34launch_new_reduce_global_fcn_fixedIZN8rajaperf4apps13DIFFUSION3DPA17runHipVariantImplILm64EEEvNS1_9VariantIDEEUlNS_14LaunchContextTINS_3hip33LaunchContextIndicesAndDimsPolicyINS7_14IndicesAndDimsILb0ELb0ELb0ELb0EEEEEEEE_Li64ENS_4expt15ForallParamPackIJEEEEEvT_T1_
    .private_segment_fixed_size: 0
    .sgpr_count:     20
    .sgpr_spill_count: 0
    .symbol:         _ZN4RAJA34launch_new_reduce_global_fcn_fixedIZN8rajaperf4apps13DIFFUSION3DPA17runHipVariantImplILm64EEEvNS1_9VariantIDEEUlNS_14LaunchContextTINS_3hip33LaunchContextIndicesAndDimsPolicyINS7_14IndicesAndDimsILb0ELb0ELb0ELb0EEEEEEEE_Li64ENS_4expt15ForallParamPackIJEEEEEvT_T1_.kd
    .uniform_work_group_size: 1
    .uses_dynamic_stack: false
    .vgpr_count:     40
    .vgpr_spill_count: 0
    .wavefront_size: 64
amdhsa.target:   amdgcn-amd-amdhsa--gfx906
amdhsa.version:
  - 1
  - 2
...

	.end_amdgpu_metadata
